;; amdgpu-corpus repo=ROCm/rocFFT kind=compiled arch=gfx906 opt=O3
	.text
	.amdgcn_target "amdgcn-amd-amdhsa--gfx906"
	.amdhsa_code_object_version 6
	.protected	fft_rtc_fwd_len1800_factors_10_6_10_3_wgs_180_tpt_180_halfLds_half_op_CI_CI_unitstride_sbrr_C2R_dirReg ; -- Begin function fft_rtc_fwd_len1800_factors_10_6_10_3_wgs_180_tpt_180_halfLds_half_op_CI_CI_unitstride_sbrr_C2R_dirReg
	.globl	fft_rtc_fwd_len1800_factors_10_6_10_3_wgs_180_tpt_180_halfLds_half_op_CI_CI_unitstride_sbrr_C2R_dirReg
	.p2align	8
	.type	fft_rtc_fwd_len1800_factors_10_6_10_3_wgs_180_tpt_180_halfLds_half_op_CI_CI_unitstride_sbrr_C2R_dirReg,@function
fft_rtc_fwd_len1800_factors_10_6_10_3_wgs_180_tpt_180_halfLds_half_op_CI_CI_unitstride_sbrr_C2R_dirReg: ; @fft_rtc_fwd_len1800_factors_10_6_10_3_wgs_180_tpt_180_halfLds_half_op_CI_CI_unitstride_sbrr_C2R_dirReg
; %bb.0:
	s_load_dwordx4 s[8:11], s[4:5], 0x58
	s_load_dwordx4 s[12:15], s[4:5], 0x0
	;; [unrolled: 1-line block ×3, first 2 shown]
	v_mul_u32_u24_e32 v1, 0x16d, v0
	v_mov_b32_e32 v8, 0
	v_mov_b32_e32 v6, 0
	s_waitcnt lgkmcnt(0)
	v_cmp_lt_u64_e64 s[0:1], s[14:15], 2
	v_add_u32_sdwa v10, s6, v1 dst_sel:DWORD dst_unused:UNUSED_PAD src0_sel:DWORD src1_sel:WORD_1
	v_mov_b32_e32 v11, v8
	s_and_b64 vcc, exec, s[0:1]
	v_mov_b32_e32 v7, 0
	s_cbranch_vccnz .LBB0_8
; %bb.1:
	s_load_dwordx2 s[0:1], s[4:5], 0x10
	s_add_u32 s2, s18, 8
	s_addc_u32 s3, s19, 0
	s_add_u32 s6, s16, 8
	s_addc_u32 s7, s17, 0
	v_mov_b32_e32 v6, 0
	s_waitcnt lgkmcnt(0)
	s_add_u32 s20, s0, 8
	v_mov_b32_e32 v7, 0
	v_mov_b32_e32 v1, v6
	s_addc_u32 s21, s1, 0
	s_mov_b64 s[22:23], 1
	v_mov_b32_e32 v2, v7
.LBB0_2:                                ; =>This Inner Loop Header: Depth=1
	s_load_dwordx2 s[24:25], s[20:21], 0x0
                                        ; implicit-def: $vgpr3_vgpr4
	s_waitcnt lgkmcnt(0)
	v_or_b32_e32 v9, s25, v11
	v_cmp_ne_u64_e32 vcc, 0, v[8:9]
	s_and_saveexec_b64 s[0:1], vcc
	s_xor_b64 s[26:27], exec, s[0:1]
	s_cbranch_execz .LBB0_4
; %bb.3:                                ;   in Loop: Header=BB0_2 Depth=1
	v_cvt_f32_u32_e32 v3, s24
	v_cvt_f32_u32_e32 v4, s25
	s_sub_u32 s0, 0, s24
	s_subb_u32 s1, 0, s25
	v_mac_f32_e32 v3, 0x4f800000, v4
	v_rcp_f32_e32 v3, v3
	v_mul_f32_e32 v3, 0x5f7ffffc, v3
	v_mul_f32_e32 v4, 0x2f800000, v3
	v_trunc_f32_e32 v4, v4
	v_mac_f32_e32 v3, 0xcf800000, v4
	v_cvt_u32_f32_e32 v4, v4
	v_cvt_u32_f32_e32 v3, v3
	v_mul_lo_u32 v5, s0, v4
	v_mul_hi_u32 v9, s0, v3
	v_mul_lo_u32 v13, s1, v3
	v_mul_lo_u32 v12, s0, v3
	v_add_u32_e32 v5, v9, v5
	v_add_u32_e32 v5, v5, v13
	v_mul_hi_u32 v9, v3, v12
	v_mul_lo_u32 v13, v3, v5
	v_mul_hi_u32 v15, v3, v5
	v_mul_hi_u32 v14, v4, v12
	v_mul_lo_u32 v12, v4, v12
	v_mul_hi_u32 v16, v4, v5
	v_add_co_u32_e32 v9, vcc, v9, v13
	v_addc_co_u32_e32 v13, vcc, 0, v15, vcc
	v_mul_lo_u32 v5, v4, v5
	v_add_co_u32_e32 v9, vcc, v9, v12
	v_addc_co_u32_e32 v9, vcc, v13, v14, vcc
	v_addc_co_u32_e32 v12, vcc, 0, v16, vcc
	v_add_co_u32_e32 v5, vcc, v9, v5
	v_addc_co_u32_e32 v9, vcc, 0, v12, vcc
	v_add_co_u32_e32 v3, vcc, v3, v5
	v_addc_co_u32_e32 v4, vcc, v4, v9, vcc
	v_mul_lo_u32 v5, s0, v4
	v_mul_hi_u32 v9, s0, v3
	v_mul_lo_u32 v12, s1, v3
	v_mul_lo_u32 v13, s0, v3
	v_add_u32_e32 v5, v9, v5
	v_add_u32_e32 v5, v5, v12
	v_mul_lo_u32 v14, v3, v5
	v_mul_hi_u32 v15, v3, v13
	v_mul_hi_u32 v16, v3, v5
	v_mul_hi_u32 v12, v4, v13
	v_mul_lo_u32 v13, v4, v13
	v_mul_hi_u32 v9, v4, v5
	v_add_co_u32_e32 v14, vcc, v15, v14
	v_addc_co_u32_e32 v15, vcc, 0, v16, vcc
	v_mul_lo_u32 v5, v4, v5
	v_add_co_u32_e32 v13, vcc, v14, v13
	v_addc_co_u32_e32 v12, vcc, v15, v12, vcc
	v_addc_co_u32_e32 v9, vcc, 0, v9, vcc
	v_add_co_u32_e32 v5, vcc, v12, v5
	v_addc_co_u32_e32 v9, vcc, 0, v9, vcc
	v_add_co_u32_e32 v5, vcc, v3, v5
	v_addc_co_u32_e32 v9, vcc, v4, v9, vcc
	v_mad_u64_u32 v[3:4], s[0:1], v10, v9, 0
	v_mul_hi_u32 v12, v10, v5
	v_add_co_u32_e32 v14, vcc, v12, v3
	v_addc_co_u32_e32 v15, vcc, 0, v4, vcc
	v_mad_u64_u32 v[3:4], s[0:1], v11, v5, 0
	v_mad_u64_u32 v[12:13], s[0:1], v11, v9, 0
	v_add_co_u32_e32 v3, vcc, v14, v3
	v_addc_co_u32_e32 v3, vcc, v15, v4, vcc
	v_addc_co_u32_e32 v4, vcc, 0, v13, vcc
	v_add_co_u32_e32 v5, vcc, v3, v12
	v_addc_co_u32_e32 v9, vcc, 0, v4, vcc
	v_mul_lo_u32 v12, s25, v5
	v_mul_lo_u32 v13, s24, v9
	v_mad_u64_u32 v[3:4], s[0:1], s24, v5, 0
	v_add3_u32 v4, v4, v13, v12
	v_sub_u32_e32 v12, v11, v4
	v_mov_b32_e32 v13, s25
	v_sub_co_u32_e32 v3, vcc, v10, v3
	v_subb_co_u32_e64 v12, s[0:1], v12, v13, vcc
	v_subrev_co_u32_e64 v13, s[0:1], s24, v3
	v_subbrev_co_u32_e64 v12, s[0:1], 0, v12, s[0:1]
	v_cmp_le_u32_e64 s[0:1], s25, v12
	v_cndmask_b32_e64 v14, 0, -1, s[0:1]
	v_cmp_le_u32_e64 s[0:1], s24, v13
	v_cndmask_b32_e64 v13, 0, -1, s[0:1]
	v_cmp_eq_u32_e64 s[0:1], s25, v12
	v_cndmask_b32_e64 v12, v14, v13, s[0:1]
	v_add_co_u32_e64 v13, s[0:1], 2, v5
	v_addc_co_u32_e64 v14, s[0:1], 0, v9, s[0:1]
	v_add_co_u32_e64 v15, s[0:1], 1, v5
	v_addc_co_u32_e64 v16, s[0:1], 0, v9, s[0:1]
	v_subb_co_u32_e32 v4, vcc, v11, v4, vcc
	v_cmp_ne_u32_e64 s[0:1], 0, v12
	v_cmp_le_u32_e32 vcc, s25, v4
	v_cndmask_b32_e64 v12, v16, v14, s[0:1]
	v_cndmask_b32_e64 v14, 0, -1, vcc
	v_cmp_le_u32_e32 vcc, s24, v3
	v_cndmask_b32_e64 v3, 0, -1, vcc
	v_cmp_eq_u32_e32 vcc, s25, v4
	v_cndmask_b32_e32 v3, v14, v3, vcc
	v_cmp_ne_u32_e32 vcc, 0, v3
	v_cndmask_b32_e64 v3, v15, v13, s[0:1]
	v_cndmask_b32_e32 v4, v9, v12, vcc
	v_cndmask_b32_e32 v3, v5, v3, vcc
.LBB0_4:                                ;   in Loop: Header=BB0_2 Depth=1
	s_andn2_saveexec_b64 s[0:1], s[26:27]
	s_cbranch_execz .LBB0_6
; %bb.5:                                ;   in Loop: Header=BB0_2 Depth=1
	v_cvt_f32_u32_e32 v3, s24
	s_sub_i32 s26, 0, s24
	v_rcp_iflag_f32_e32 v3, v3
	v_mul_f32_e32 v3, 0x4f7ffffe, v3
	v_cvt_u32_f32_e32 v3, v3
	v_mul_lo_u32 v4, s26, v3
	v_mul_hi_u32 v4, v3, v4
	v_add_u32_e32 v3, v3, v4
	v_mul_hi_u32 v3, v10, v3
	v_mul_lo_u32 v4, v3, s24
	v_add_u32_e32 v5, 1, v3
	v_sub_u32_e32 v4, v10, v4
	v_subrev_u32_e32 v9, s24, v4
	v_cmp_le_u32_e32 vcc, s24, v4
	v_cndmask_b32_e32 v4, v4, v9, vcc
	v_cndmask_b32_e32 v3, v3, v5, vcc
	v_add_u32_e32 v5, 1, v3
	v_cmp_le_u32_e32 vcc, s24, v4
	v_cndmask_b32_e32 v3, v3, v5, vcc
	v_mov_b32_e32 v4, v8
.LBB0_6:                                ;   in Loop: Header=BB0_2 Depth=1
	s_or_b64 exec, exec, s[0:1]
	v_mul_lo_u32 v5, v4, s24
	v_mul_lo_u32 v9, v3, s25
	v_mad_u64_u32 v[12:13], s[0:1], v3, s24, 0
	s_load_dwordx2 s[0:1], s[6:7], 0x0
	s_load_dwordx2 s[24:25], s[2:3], 0x0
	v_add3_u32 v5, v13, v9, v5
	v_sub_co_u32_e32 v9, vcc, v10, v12
	v_subb_co_u32_e32 v5, vcc, v11, v5, vcc
	s_waitcnt lgkmcnt(0)
	v_mul_lo_u32 v10, s0, v5
	v_mul_lo_u32 v11, s1, v9
	v_mad_u64_u32 v[6:7], s[0:1], s0, v9, v[6:7]
	s_add_u32 s22, s22, 1
	s_addc_u32 s23, s23, 0
	s_add_u32 s2, s2, 8
	v_mul_lo_u32 v5, s24, v5
	v_mul_lo_u32 v12, s25, v9
	v_mad_u64_u32 v[1:2], s[0:1], s24, v9, v[1:2]
	v_add3_u32 v7, v11, v7, v10
	s_addc_u32 s3, s3, 0
	v_mov_b32_e32 v9, s14
	s_add_u32 s6, s6, 8
	v_mov_b32_e32 v10, s15
	s_addc_u32 s7, s7, 0
	v_cmp_ge_u64_e32 vcc, s[22:23], v[9:10]
	s_add_u32 s20, s20, 8
	v_add3_u32 v2, v12, v2, v5
	s_addc_u32 s21, s21, 0
	s_cbranch_vccnz .LBB0_9
; %bb.7:                                ;   in Loop: Header=BB0_2 Depth=1
	v_mov_b32_e32 v11, v4
	v_mov_b32_e32 v10, v3
	s_branch .LBB0_2
.LBB0_8:
	v_mov_b32_e32 v1, v6
	v_mov_b32_e32 v3, v10
	;; [unrolled: 1-line block ×4, first 2 shown]
.LBB0_9:
	s_load_dwordx2 s[2:3], s[4:5], 0x28
	s_lshl_b64 s[6:7], s[14:15], 3
	s_add_u32 s4, s18, s6
	s_addc_u32 s5, s19, s7
                                        ; implicit-def: $vgpr5
	s_waitcnt lgkmcnt(0)
	v_cmp_gt_u64_e64 s[0:1], s[2:3], v[3:4]
	v_cmp_le_u64_e32 vcc, s[2:3], v[3:4]
	s_and_saveexec_b64 s[2:3], vcc
	s_xor_b64 s[2:3], exec, s[2:3]
; %bb.10:
	s_mov_b32 s14, 0x16c16c2
	v_mul_hi_u32 v5, v0, s14
                                        ; implicit-def: $vgpr6_vgpr7
	v_mul_u32_u24_e32 v5, 0xb4, v5
	v_sub_u32_e32 v5, v0, v5
                                        ; implicit-def: $vgpr0
; %bb.11:
	s_or_saveexec_b64 s[2:3], s[2:3]
	s_load_dwordx2 s[4:5], s[4:5], 0x0
	s_xor_b64 exec, exec, s[2:3]
	s_cbranch_execz .LBB0_15
; %bb.12:
	s_add_u32 s6, s16, s6
	s_addc_u32 s7, s17, s7
	s_load_dwordx2 s[6:7], s[6:7], 0x0
	s_mov_b32 s14, 0x16c16c2
	v_mul_hi_u32 v5, v0, s14
	v_lshlrev_b64 v[6:7], 2, v[6:7]
	s_waitcnt lgkmcnt(0)
	v_mul_lo_u32 v10, s7, v3
	v_mul_lo_u32 v11, s6, v4
	v_mad_u64_u32 v[8:9], s[6:7], s6, v3, 0
	v_mul_u32_u24_e32 v5, 0xb4, v5
	v_sub_u32_e32 v5, v0, v5
	v_add3_u32 v9, v9, v11, v10
	v_lshlrev_b64 v[8:9], 2, v[8:9]
	v_mov_b32_e32 v0, s9
	v_add_co_u32_e32 v8, vcc, s8, v8
	v_addc_co_u32_e32 v0, vcc, v0, v9, vcc
	v_add_co_u32_e32 v6, vcc, v8, v6
	v_addc_co_u32_e32 v0, vcc, v0, v7, vcc
	v_lshlrev_b32_e32 v11, 2, v5
	v_add_co_u32_e32 v7, vcc, v6, v11
	v_addc_co_u32_e32 v8, vcc, 0, v0, vcc
	s_movk_i32 s6, 0x1000
	v_add_co_u32_e32 v9, vcc, s6, v7
	v_addc_co_u32_e32 v10, vcc, 0, v8, vcc
	global_load_dword v12, v[7:8], off
	global_load_dword v13, v[7:8], off offset:720
	global_load_dword v14, v[7:8], off offset:1440
	;; [unrolled: 1-line block ×9, first 2 shown]
	s_movk_i32 s6, 0xb3
	v_add_u32_e32 v7, 0, v11
	v_cmp_eq_u32_e32 vcc, s6, v5
	v_add_u32_e32 v8, 0x500, v7
	v_add_u32_e32 v9, 0xb00, v7
	;; [unrolled: 1-line block ×4, first 2 shown]
	s_waitcnt vmcnt(8)
	ds_write2_b32 v7, v12, v13 offset1:180
	s_waitcnt vmcnt(6)
	ds_write2_b32 v8, v14, v15 offset0:40 offset1:220
	s_waitcnt vmcnt(4)
	ds_write2_b32 v9, v16, v17 offset0:16 offset1:196
	;; [unrolled: 2-line block ×4, first 2 shown]
	s_and_saveexec_b64 s[6:7], vcc
	s_cbranch_execz .LBB0_14
; %bb.13:
	v_add_co_u32_e32 v5, vcc, 0x1000, v6
	v_addc_co_u32_e32 v6, vcc, 0, v0, vcc
	global_load_dword v0, v[5:6], off offset:3104
	v_mov_b32_e32 v5, 0
	s_waitcnt vmcnt(0)
	ds_write_b32 v5, v0 offset:7200
	v_mov_b32_e32 v5, 0xb3
.LBB0_14:
	s_or_b64 exec, exec, s[6:7]
.LBB0_15:
	s_or_b64 exec, exec, s[2:3]
	v_lshlrev_b32_e32 v6, 2, v5
	v_add_u32_e32 v0, 0, v6
	s_waitcnt lgkmcnt(0)
	s_barrier
	v_sub_u32_e32 v8, 0, v6
	ds_read_u16 v11, v0
	ds_read_u16 v12, v8 offset:7200
	s_add_u32 s6, s12, 0x1bf8
	s_addc_u32 s7, s13, 0
	v_cmp_ne_u32_e32 vcc, 0, v5
                                        ; implicit-def: $vgpr6_vgpr7
	s_waitcnt lgkmcnt(0)
	v_add_f16_e32 v9, v12, v11
	v_sub_f16_e32 v10, v11, v12
	s_and_saveexec_b64 s[2:3], vcc
	s_xor_b64 s[2:3], exec, s[2:3]
	s_cbranch_execz .LBB0_17
; %bb.16:
	v_mov_b32_e32 v6, 0
	v_lshlrev_b64 v[9:10], 2, v[5:6]
	v_mov_b32_e32 v7, s7
	v_add_co_u32_e32 v9, vcc, s6, v9
	v_addc_co_u32_e32 v10, vcc, v7, v10, vcc
	global_load_dword v7, v[9:10], off
	ds_read_u16 v9, v8 offset:7202
	ds_read_u16 v10, v0 offset:2
	v_add_f16_e32 v13, v12, v11
	v_sub_f16_e32 v11, v11, v12
	s_waitcnt lgkmcnt(0)
	v_add_f16_e32 v12, v9, v10
	v_sub_f16_e32 v9, v10, v9
	s_waitcnt vmcnt(0)
	v_lshrrev_b32_e32 v10, 16, v7
	v_fma_f16 v14, v11, v10, v13
	v_fma_f16 v15, v12, v10, v9
	v_fma_f16 v13, -v11, v10, v13
	v_fma_f16 v16, v12, v10, -v9
	v_fma_f16 v9, -v7, v12, v14
	v_fma_f16 v10, v11, v7, v15
	v_fma_f16 v12, v7, v12, v13
	;; [unrolled: 1-line block ×3, first 2 shown]
	v_pack_b32_f16 v7, v12, v7
	ds_write_b32 v8, v7 offset:7200
	v_mov_b32_e32 v7, v6
	v_mov_b32_e32 v6, v5
.LBB0_17:
	s_andn2_saveexec_b64 s[2:3], s[2:3]
	s_cbranch_execz .LBB0_19
; %bb.18:
	v_mov_b32_e32 v11, 0
	ds_read_b32 v6, v11 offset:3600
	s_mov_b32 s8, 0xc0004000
	s_waitcnt lgkmcnt(0)
	v_pk_mul_f16 v12, v6, s8
	v_mov_b32_e32 v6, 0
	v_mov_b32_e32 v7, 0
	ds_write_b32 v11, v12 offset:3600
.LBB0_19:
	s_or_b64 exec, exec, s[2:3]
	v_lshlrev_b64 v[6:7], 2, v[6:7]
	v_mov_b32_e32 v11, s7
	v_add_co_u32_e32 v6, vcc, s6, v6
	v_addc_co_u32_e32 v7, vcc, v11, v7, vcc
	global_load_dword v11, v[6:7], off offset:720
	global_load_dword v12, v[6:7], off offset:1440
	;; [unrolled: 1-line block ×4, first 2 shown]
	s_mov_b32 s2, 0x5040100
	v_perm_b32 v6, v10, v9, s2
	ds_write_b32 v0, v6
	ds_read_b32 v6, v0 offset:720
	ds_read_b32 v7, v8 offset:6480
	s_movk_i32 s2, 0x3b9c
	s_movk_i32 s3, 0x38b4
	s_mov_b32 s7, 0xbb9c
	s_movk_i32 s6, 0x34f2
	s_waitcnt lgkmcnt(0)
	v_add_f16_e32 v9, v6, v7
	v_add_f16_sdwa v10, v7, v6 dst_sel:DWORD dst_unused:UNUSED_PAD src0_sel:WORD_1 src1_sel:WORD_1
	v_sub_f16_e32 v15, v6, v7
	v_sub_f16_sdwa v6, v6, v7 dst_sel:DWORD dst_unused:UNUSED_PAD src0_sel:WORD_1 src1_sel:WORD_1
	s_mov_b32 s8, 0xb8b4
	s_movk_i32 s9, 0x3a79
	s_waitcnt vmcnt(3)
	v_lshrrev_b32_e32 v7, 16, v11
	v_fma_f16 v16, v15, v7, v9
	v_fma_f16 v17, v10, v7, v6
	v_fma_f16 v9, -v15, v7, v9
	v_fma_f16 v6, v10, v7, -v6
	v_fma_f16 v7, -v11, v10, v16
	v_fma_f16 v16, v15, v11, v17
	v_fma_f16 v9, v11, v10, v9
	v_fma_f16 v6, v15, v11, v6
	v_pack_b32_f16 v7, v7, v16
	v_pack_b32_f16 v6, v9, v6
	ds_write_b32 v0, v7 offset:720
	ds_write_b32 v8, v6 offset:6480
	ds_read_b32 v6, v0 offset:1440
	ds_read_b32 v7, v8 offset:5760
	s_waitcnt vmcnt(2)
	v_lshrrev_b32_e32 v9, 16, v12
	s_waitcnt lgkmcnt(0)
	v_add_f16_e32 v10, v6, v7
	v_add_f16_sdwa v11, v7, v6 dst_sel:DWORD dst_unused:UNUSED_PAD src0_sel:WORD_1 src1_sel:WORD_1
	v_sub_f16_e32 v15, v6, v7
	v_sub_f16_sdwa v6, v6, v7 dst_sel:DWORD dst_unused:UNUSED_PAD src0_sel:WORD_1 src1_sel:WORD_1
	v_fma_f16 v7, v15, v9, v10
	v_fma_f16 v16, v11, v9, v6
	v_fma_f16 v10, -v15, v9, v10
	v_fma_f16 v6, v11, v9, -v6
	v_fma_f16 v7, -v12, v11, v7
	v_fma_f16 v9, v15, v12, v16
	v_fma_f16 v10, v12, v11, v10
	;; [unrolled: 1-line block ×3, first 2 shown]
	v_pack_b32_f16 v7, v7, v9
	v_pack_b32_f16 v6, v10, v6
	ds_write_b32 v0, v7 offset:1440
	ds_write_b32 v8, v6 offset:5760
	ds_read_b32 v6, v0 offset:2160
	ds_read_b32 v7, v8 offset:5040
	s_waitcnt vmcnt(1)
	v_lshrrev_b32_e32 v9, 16, v13
	s_waitcnt lgkmcnt(0)
	v_add_f16_e32 v10, v6, v7
	v_add_f16_sdwa v11, v7, v6 dst_sel:DWORD dst_unused:UNUSED_PAD src0_sel:WORD_1 src1_sel:WORD_1
	v_sub_f16_e32 v12, v6, v7
	v_sub_f16_sdwa v6, v6, v7 dst_sel:DWORD dst_unused:UNUSED_PAD src0_sel:WORD_1 src1_sel:WORD_1
	v_fma_f16 v7, v12, v9, v10
	v_fma_f16 v15, v11, v9, v6
	v_fma_f16 v10, -v12, v9, v10
	v_fma_f16 v6, v11, v9, -v6
	v_fma_f16 v7, -v13, v11, v7
	v_fma_f16 v9, v12, v13, v15
	v_fma_f16 v10, v13, v11, v10
	;; [unrolled: 1-line block ×3, first 2 shown]
	v_pack_b32_f16 v7, v7, v9
	v_pack_b32_f16 v6, v10, v6
	ds_write_b32 v0, v7 offset:2160
	ds_write_b32 v8, v6 offset:5040
	ds_read_b32 v6, v0 offset:2880
	ds_read_b32 v7, v8 offset:4320
	s_waitcnt vmcnt(0)
	v_lshrrev_b32_e32 v12, 16, v14
	v_add_u32_e32 v9, 0xb00, v0
	v_add_u32_e32 v10, 0x1000, v0
	;; [unrolled: 1-line block ×3, first 2 shown]
	s_waitcnt lgkmcnt(0)
	v_add_f16_e32 v13, v6, v7
	v_add_f16_sdwa v15, v7, v6 dst_sel:DWORD dst_unused:UNUSED_PAD src0_sel:WORD_1 src1_sel:WORD_1
	v_sub_f16_e32 v16, v6, v7
	v_sub_f16_sdwa v6, v6, v7 dst_sel:DWORD dst_unused:UNUSED_PAD src0_sel:WORD_1 src1_sel:WORD_1
	v_fma_f16 v7, v16, v12, v13
	v_fma_f16 v17, v15, v12, v6
	v_fma_f16 v13, -v16, v12, v13
	v_fma_f16 v6, v15, v12, -v6
	v_fma_f16 v7, -v14, v15, v7
	v_fma_f16 v12, v16, v14, v17
	v_fma_f16 v13, v14, v15, v13
	;; [unrolled: 1-line block ×3, first 2 shown]
	v_pack_b32_f16 v7, v7, v12
	v_pack_b32_f16 v6, v13, v6
	v_add_u32_e32 v14, 0x1600, v0
	ds_write_b32 v0, v7 offset:2880
	ds_write_b32 v8, v6 offset:4320
	s_waitcnt lgkmcnt(0)
	s_barrier
	s_barrier
	ds_read2_b32 v[6:7], v9 offset0:16 offset1:196
	ds_read2_b32 v[8:9], v10 offset0:56 offset1:236
	;; [unrolled: 1-line block ×3, first 2 shown]
	ds_read2_b32 v[12:13], v0 offset1:180
	ds_read2_b32 v[14:15], v14 offset0:32 offset1:212
	s_waitcnt lgkmcnt(0)
	s_barrier
	v_sub_f16_e32 v18, v10, v6
	v_pk_add_f16 v20, v12, v10
	v_pk_add_f16 v24, v13, v11
	v_add_f16_e32 v16, v6, v8
	v_sub_f16_sdwa v17, v6, v8 dst_sel:DWORD dst_unused:UNUSED_PAD src0_sel:WORD_1 src1_sel:WORD_1
	v_sub_f16_e32 v19, v6, v10
	v_add_f16_sdwa v21, v6, v8 dst_sel:DWORD dst_unused:UNUSED_PAD src0_sel:WORD_1 src1_sel:WORD_1
	v_sub_f16_e32 v22, v6, v8
	v_sub_f16_sdwa v23, v10, v6 dst_sel:DWORD dst_unused:UNUSED_PAD src0_sel:WORD_1 src1_sel:WORD_1
	v_sub_f16_sdwa v25, v6, v10 dst_sel:DWORD dst_unused:UNUSED_PAD src0_sel:WORD_1 src1_sel:WORD_1
	v_add_f16_e32 v26, v7, v9
	v_sub_f16_sdwa v27, v7, v9 dst_sel:DWORD dst_unused:UNUSED_PAD src0_sel:WORD_1 src1_sel:WORD_1
	v_sub_f16_e32 v28, v11, v7
	v_sub_f16_e32 v29, v7, v11
	v_add_f16_sdwa v30, v7, v9 dst_sel:DWORD dst_unused:UNUSED_PAD src0_sel:WORD_1 src1_sel:WORD_1
	v_sub_f16_e32 v31, v7, v9
	v_sub_f16_sdwa v32, v11, v7 dst_sel:DWORD dst_unused:UNUSED_PAD src0_sel:WORD_1 src1_sel:WORD_1
	v_sub_f16_sdwa v33, v7, v11 dst_sel:DWORD dst_unused:UNUSED_PAD src0_sel:WORD_1 src1_sel:WORD_1
	v_pk_add_f16 v6, v20, v6
	v_pk_add_f16 v7, v24, v7
	v_add_f16_e32 v24, v10, v14
	v_add_f16_e32 v36, v11, v15
	v_pk_add_f16 v6, v6, v8
	v_pk_add_f16 v7, v7, v9
	v_sub_f16_e32 v38, v14, v8
	v_sub_f16_sdwa v40, v14, v8 dst_sel:DWORD dst_unused:UNUSED_PAD src0_sel:WORD_1 src1_sel:WORD_1
	v_sub_f16_sdwa v35, v11, v15 dst_sel:DWORD dst_unused:UNUSED_PAD src0_sel:WORD_1 src1_sel:WORD_1
	v_sub_f16_e32 v37, v11, v15
	v_add_f16_sdwa v11, v11, v15 dst_sel:DWORD dst_unused:UNUSED_PAD src0_sel:WORD_1 src1_sel:WORD_1
	v_sub_f16_e32 v41, v15, v9
	v_sub_f16_e32 v42, v9, v15
	v_sub_f16_sdwa v43, v15, v9 dst_sel:DWORD dst_unused:UNUSED_PAD src0_sel:WORD_1 src1_sel:WORD_1
	v_sub_f16_sdwa v9, v9, v15 dst_sel:DWORD dst_unused:UNUSED_PAD src0_sel:WORD_1 src1_sel:WORD_1
	v_pk_add_f16 v44, v6, v14
	v_pk_add_f16 v15, v7, v15
	v_add_f16_e32 v6, v18, v38
	v_add_f16_e32 v7, v23, v40
	v_fma_f16 v18, v24, -0.5, v12
	v_fma_f16 v23, v26, -0.5, v13
	;; [unrolled: 1-line block ×3, first 2 shown]
	v_lshrrev_b32_e32 v13, 16, v13
	v_sub_f16_sdwa v20, v10, v14 dst_sel:DWORD dst_unused:UNUSED_PAD src0_sel:WORD_1 src1_sel:WORD_1
	v_sub_f16_e32 v34, v10, v14
	v_add_f16_sdwa v10, v10, v14 dst_sel:DWORD dst_unused:UNUSED_PAD src0_sel:WORD_1 src1_sel:WORD_1
	v_sub_f16_e32 v39, v8, v14
	v_sub_f16_sdwa v8, v8, v14 dst_sel:DWORD dst_unused:UNUSED_PAD src0_sel:WORD_1 src1_sel:WORD_1
	v_add_f16_e32 v14, v28, v41
	v_fma_f16 v28, v35, s2, v23
	v_fma_f16 v30, v30, -0.5, v13
	v_add_f16_e32 v26, v32, v43
	v_fma_f16 v28, v27, s3, v28
	v_fma_f16 v32, v37, s7, v30
	;; [unrolled: 1-line block ×4, first 2 shown]
	v_fma_f16 v16, v16, -0.5, v12
	v_fma_f16 v32, v26, s6, v32
	v_mul_f16_e32 v36, 0x3a79, v28
	v_mul_f16_e32 v28, 0xb8b4, v28
	v_fma_f16 v36, v32, s3, v36
	v_fma_f16 v28, v32, s9, v28
	;; [unrolled: 1-line block ×6, first 2 shown]
	v_lshrrev_b32_e32 v12, 16, v12
	v_fma_f16 v32, v6, s6, v32
	v_fma_f16 v16, v6, s6, v16
	v_add_f16_e32 v6, v19, v39
	v_fma_f16 v19, v17, s7, v18
	v_fma_f16 v17, v17, s2, v18
	v_fma_f16 v21, v21, -0.5, v12
	v_fma_f16 v18, v20, s3, v19
	v_fma_f16 v17, v20, s8, v17
	;; [unrolled: 1-line block ×9, first 2 shown]
	v_fma_f16 v6, v10, -0.5, v12
	v_fma_f16 v38, v7, s6, v38
	v_add_f16_e32 v7, v25, v8
	v_fma_f16 v8, v22, s2, v6
	v_fma_f16 v6, v22, s7, v6
	;; [unrolled: 1-line block ×3, first 2 shown]
	v_fma_f16 v11, v11, -0.5, v13
	v_fma_f16 v10, v7, s6, v6
	v_fma_f16 v6, v35, s7, v23
	;; [unrolled: 1-line block ×6, first 2 shown]
	v_add_f16_e32 v9, v33, v9
	v_fma_f16 v11, v31, s7, v11
	v_fma_f16 v13, v37, s8, v13
	;; [unrolled: 1-line block ×4, first 2 shown]
	v_add_f16_e32 v7, v29, v42
	v_fma_f16 v14, v27, s2, v24
	v_fma_f16 v12, v35, s3, v12
	;; [unrolled: 1-line block ×7, first 2 shown]
	v_mul_f16_e32 v11, 0x3b9c, v13
	v_fma_f16 v7, v7, s6, v14
	v_fma_f16 v11, v12, s6, v11
	v_mul_f16_e32 v12, 0xbb9c, v12
	v_fma_f16 v14, v37, s2, v30
	v_fma_f16 v19, v13, s6, v12
	v_mul_f16_e32 v12, 0x34f2, v7
	v_fma_f16 v14, v31, s3, v14
	v_fma_f16 v13, v9, s2, -v12
	v_mul_f16_e32 v9, 0x34f2, v9
	v_fma_f16 v14, v26, s6, v14
	v_fma_f16 v9, v7, s7, -v9
	v_mul_f16_e32 v7, 0x3a79, v6
	v_fma_f16 v7, v14, s3, -v7
	v_mul_f16_e32 v12, 0x3a79, v14
	v_add_f16_e32 v40, v32, v36
	v_add_f16_e32 v41, v38, v28
	v_fma_f16 v14, v6, s8, -v12
	v_add_f16_e32 v21, v18, v11
	v_sub_f16_e32 v12, v18, v11
	v_add_f16_e32 v18, v17, v13
	v_sub_f16_e32 v11, v17, v13
	;; [unrolled: 2-line block ×4, first 2 shown]
	v_add_f16_e32 v8, v10, v9
	v_pack_b32_f16 v40, v40, v41
	v_mad_u32_u24 v41, v5, 36, v0
	v_sub_f16_e32 v17, v10, v9
	v_add_f16_e32 v9, v20, v14
	v_pack_b32_f16 v8, v18, v8
	v_pack_b32_f16 v10, v21, v16
	v_sub_f16_e32 v6, v32, v36
	v_sub_f16_e32 v7, v38, v28
	ds_write2_b32 v41, v10, v8 offset0:2 offset1:3
	v_pk_add_f16 v8, v44, v15 neg_lo:[0,1] neg_hi:[0,1]
	v_pack_b32_f16 v9, v22, v9
	v_sub_f16_e32 v14, v20, v14
	ds_write2_b32 v41, v9, v8 offset0:4 offset1:5
	v_pack_b32_f16 v8, v6, v7
	v_pack_b32_f16 v9, v12, v19
	v_pk_add_f16 v43, v44, v15
	ds_write2_b32 v41, v8, v9 offset0:6 offset1:7
	v_pack_b32_f16 v8, v13, v14
	v_pack_b32_f16 v9, v11, v17
	ds_write2_b32 v41, v43, v40 offset1:1
	ds_write2_b32 v41, v9, v8 offset0:8 offset1:9
	s_waitcnt lgkmcnt(0)
	s_barrier
	ds_read_b32 v8, v0
	ds_read_b32 v26, v0 offset:1200
	ds_read_b32 v25, v0 offset:2400
	;; [unrolled: 1-line block ×5, first 2 shown]
	s_movk_i32 s2, 0x78
	v_cmp_gt_u32_e32 vcc, s2, v5
                                        ; implicit-def: $vgpr18
                                        ; implicit-def: $vgpr15
                                        ; implicit-def: $vgpr21
                                        ; implicit-def: $vgpr20
	s_and_saveexec_b64 s[2:3], vcc
	s_cbranch_execz .LBB0_21
; %bb.20:
	ds_read_b32 v6, v0 offset:720
	ds_read_b32 v12, v0 offset:1920
	;; [unrolled: 1-line block ×5, first 2 shown]
	ds_read_u16 v14, v0 offset:4322
	ds_read_b32 v13, v0 offset:4320
	s_waitcnt lgkmcnt(6)
	v_lshrrev_b32_e32 v7, 16, v6
	s_waitcnt lgkmcnt(3)
	v_lshrrev_b32_e32 v21, 16, v20
	;; [unrolled: 2-line block ×3, first 2 shown]
	v_lshrrev_b32_e32 v19, 16, v12
	v_lshrrev_b32_e32 v17, 16, v11
.LBB0_21:
	s_or_b64 exec, exec, s[2:3]
	s_movk_i32 s2, 0xcd
	v_mul_lo_u16_sdwa v9, v5, s2 dst_sel:DWORD dst_unused:UNUSED_PAD src0_sel:BYTE_0 src1_sel:DWORD
	v_lshrrev_b16_e32 v35, 11, v9
	v_mul_lo_u16_e32 v9, 10, v35
	v_sub_u16_e32 v36, v5, v9
	v_mov_b32_e32 v9, 5
	v_mul_u32_u24_sdwa v9, v36, v9 dst_sel:DWORD dst_unused:UNUSED_PAD src0_sel:BYTE_0 src1_sel:DWORD
	v_add_u32_e32 v16, 0xb4, v5
	s_mov_b32 s2, 0xcccd
	v_lshlrev_b32_e32 v10, 2, v9
	v_mul_u32_u24_sdwa v9, v16, s2 dst_sel:DWORD dst_unused:UNUSED_PAD src0_sel:WORD_0 src1_sel:DWORD
	v_lshrrev_b32_e32 v9, 19, v9
	global_load_dwordx4 v[27:30], v10, s[12:13]
	global_load_dword v37, v10, s[12:13] offset:16
	v_mul_lo_u16_e32 v31, 10, v9
	v_sub_u16_e32 v10, v16, v31
	v_mul_u32_u24_e32 v31, 5, v10
	v_lshlrev_b32_e32 v38, 2, v31
	global_load_dwordx4 v[31:34], v38, s[12:13]
	global_load_dword v39, v38, s[12:13] offset:16
	s_waitcnt lgkmcnt(4)
	v_lshrrev_b32_e32 v40, 16, v26
	s_waitcnt lgkmcnt(3)
	v_lshrrev_b32_e32 v41, 16, v25
	;; [unrolled: 2-line block ×5, first 2 shown]
	v_lshrrev_b32_e32 v38, 16, v8
	s_movk_i32 s3, 0x3aee
	s_mov_b32 s2, 0xbaee
	v_mul_u32_u24_e32 v35, 0xf0, v35
	s_waitcnt vmcnt(0)
	s_barrier
	v_mul_f16_sdwa v45, v27, v40 dst_sel:DWORD dst_unused:UNUSED_PAD src0_sel:WORD_1 src1_sel:DWORD
	v_mul_f16_sdwa v46, v27, v26 dst_sel:DWORD dst_unused:UNUSED_PAD src0_sel:WORD_1 src1_sel:DWORD
	;; [unrolled: 1-line block ×3, first 2 shown]
	v_fma_f16 v26, v27, v26, -v45
	v_mul_f16_sdwa v45, v28, v25 dst_sel:DWORD dst_unused:UNUSED_PAD src0_sel:WORD_1 src1_sel:DWORD
	v_fma_f16 v27, v27, v40, v46
	v_mul_f16_sdwa v40, v29, v42 dst_sel:DWORD dst_unused:UNUSED_PAD src0_sel:WORD_1 src1_sel:DWORD
	v_fma_f16 v46, v28, v25, -v47
	v_mul_f16_sdwa v25, v29, v24 dst_sel:DWORD dst_unused:UNUSED_PAD src0_sel:WORD_1 src1_sel:DWORD
	v_fma_f16 v28, v28, v41, v45
	v_mul_f16_sdwa v41, v30, v43 dst_sel:DWORD dst_unused:UNUSED_PAD src0_sel:WORD_1 src1_sel:DWORD
	;; [unrolled: 4-line block ×3, first 2 shown]
	v_fma_f16 v41, v30, v23, -v41
	v_mul_f16_sdwa v23, v37, v22 dst_sel:DWORD dst_unused:UNUSED_PAD src0_sel:WORD_1 src1_sel:DWORD
	v_mul_f16_sdwa v42, v12, v31 dst_sel:DWORD dst_unused:UNUSED_PAD src0_sel:DWORD src1_sel:WORD_1
	v_fma_f16 v30, v30, v43, v24
	v_mul_f16_sdwa v24, v19, v31 dst_sel:DWORD dst_unused:UNUSED_PAD src0_sel:DWORD src1_sel:WORD_1
	v_mul_f16_sdwa v47, v14, v33 dst_sel:DWORD dst_unused:UNUSED_PAD src0_sel:DWORD src1_sel:WORD_1
	v_fma_f16 v48, v37, v22, -v25
	v_mul_f16_sdwa v25, v13, v33 dst_sel:DWORD dst_unused:UNUSED_PAD src0_sel:DWORD src1_sel:WORD_1
	v_fma_f16 v37, v37, v44, v23
	v_mul_f16_sdwa v44, v21, v34 dst_sel:DWORD dst_unused:UNUSED_PAD src0_sel:DWORD src1_sel:WORD_1
	v_fma_f16 v22, v19, v31, v42
	v_mul_f16_sdwa v19, v15, v39 dst_sel:DWORD dst_unused:UNUSED_PAD src0_sel:DWORD src1_sel:WORD_1
	v_mul_f16_sdwa v43, v17, v32 dst_sel:DWORD dst_unused:UNUSED_PAD src0_sel:DWORD src1_sel:WORD_1
	v_mul_f16_sdwa v45, v11, v32 dst_sel:DWORD dst_unused:UNUSED_PAD src0_sel:DWORD src1_sel:WORD_1
	v_mul_f16_sdwa v49, v20, v34 dst_sel:DWORD dst_unused:UNUSED_PAD src0_sel:DWORD src1_sel:WORD_1
	v_fma_f16 v12, v12, v31, -v24
	v_mul_f16_sdwa v50, v18, v39 dst_sel:DWORD dst_unused:UNUSED_PAD src0_sel:DWORD src1_sel:WORD_1
	v_fma_f16 v13, v13, v33, -v47
	v_fma_f16 v24, v14, v33, v25
	v_fma_f16 v14, v20, v34, -v44
	v_fma_f16 v25, v18, v39, v19
	v_add_f16_e32 v18, v46, v41
	v_sub_f16_e32 v19, v28, v30
	v_add_f16_e32 v20, v38, v28
	v_add_f16_e32 v28, v28, v30
	;; [unrolled: 1-line block ×3, first 2 shown]
	v_fma_f16 v11, v11, v32, -v43
	v_fma_f16 v23, v17, v32, v45
	v_fma_f16 v21, v21, v34, v49
	v_fma_f16 v15, v15, v39, -v50
	v_add_f16_e32 v17, v8, v46
	v_sub_f16_e32 v31, v46, v41
	v_add_f16_e32 v32, v26, v40
	v_sub_f16_e32 v34, v29, v37
	v_add_f16_e32 v39, v27, v29
	v_add_f16_e32 v29, v29, v37
	v_fma_f16 v8, v18, -0.5, v8
	v_add_f16_e32 v18, v20, v30
	v_fma_f16 v20, v28, -0.5, v38
	v_fma_f16 v26, v33, -0.5, v26
	v_add_f16_e32 v28, v32, v48
	v_fma_f16 v32, v19, s3, v8
	v_fma_f16 v8, v19, s2, v8
	;; [unrolled: 1-line block ×6, first 2 shown]
	v_fma_f16 v27, v29, -0.5, v27
	v_sub_f16_e32 v29, v40, v48
	v_fma_f16 v33, v29, s2, v27
	v_fma_f16 v27, v29, s3, v27
	v_mul_f16_e32 v38, -0.5, v26
	v_fma_f16 v38, v27, s3, v38
	v_add_f16_e32 v17, v17, v41
	v_add_f16_e32 v30, v39, v37
	;; [unrolled: 1-line block ×3, first 2 shown]
	v_mul_f16_e32 v27, -0.5, v27
	v_sub_f16_e32 v38, v8, v38
	v_add_f16_e32 v8, v11, v14
	v_add_f16_e32 v34, v17, v28
	v_fma_f16 v26, v26, s2, v27
	v_sub_f16_e32 v43, v17, v28
	v_fma_f16 v8, v8, -0.5, v6
	v_sub_f16_e32 v17, v23, v21
	v_mul_f16_e32 v29, 0x3aee, v33
	v_add_f16_e32 v42, v20, v26
	v_sub_f16_e32 v47, v20, v26
	v_fma_f16 v26, v17, s3, v8
	v_fma_f16 v27, v17, s2, v8
	v_add_f16_e32 v8, v23, v21
	v_fma_f16 v29, v31, 0.5, v29
	v_fma_f16 v8, v8, -0.5, v7
	v_sub_f16_e32 v17, v11, v14
	v_add_f16_e32 v37, v32, v29
	v_sub_f16_e32 v44, v32, v29
	v_fma_f16 v28, v17, s2, v8
	v_fma_f16 v29, v17, s3, v8
	v_add_f16_e32 v8, v13, v15
	v_mul_f16_e32 v31, 0xbaee, v31
	v_fma_f16 v8, v8, -0.5, v12
	v_sub_f16_e32 v17, v24, v25
	v_add_f16_e32 v40, v18, v30
	v_fma_f16 v31, v33, 0.5, v31
	v_sub_f16_e32 v45, v18, v30
	v_fma_f16 v18, v17, s3, v8
	v_fma_f16 v8, v17, s2, v8
	v_add_f16_e32 v17, v24, v25
	v_add_f16_e32 v41, v19, v31
	v_sub_f16_e32 v46, v19, v31
	v_fma_f16 v17, v17, -0.5, v22
	v_sub_f16_e32 v19, v13, v15
	v_fma_f16 v20, v19, s2, v17
	v_fma_f16 v17, v19, s3, v17
	v_mul_f16_e32 v19, 0x3aee, v20
	v_fma_f16 v30, v18, 0.5, v19
	v_mul_f16_e32 v19, -0.5, v8
	v_fma_f16 v31, v17, s3, v19
	v_mul_f16_e32 v17, -0.5, v17
	v_fma_f16 v33, v8, s2, v17
	v_mov_b32_e32 v8, 2
	v_lshlrev_b32_sdwa v36, v8, v36 dst_sel:DWORD dst_unused:UNUSED_PAD src0_sel:DWORD src1_sel:BYTE_0
	v_mul_f16_e32 v18, 0xbaee, v18
	v_add3_u32 v35, 0, v35, v36
	v_pack_b32_f16 v34, v34, v40
	v_pack_b32_f16 v36, v37, v41
	v_fma_f16 v32, v20, 0.5, v18
	ds_write2_b32 v35, v34, v36 offset1:10
	v_pack_b32_f16 v34, v39, v42
	v_pack_b32_f16 v36, v43, v45
	v_sub_f16_e32 v18, v26, v30
	v_sub_f16_e32 v17, v27, v31
	;; [unrolled: 1-line block ×4, first 2 shown]
	ds_write2_b32 v35, v34, v36 offset0:20 offset1:30
	v_pack_b32_f16 v34, v44, v46
	v_pack_b32_f16 v36, v38, v47
	ds_write2_b32 v35, v34, v36 offset0:40 offset1:50
	s_and_saveexec_b64 s[2:3], vcc
	s_cbranch_execz .LBB0_23
; %bb.22:
	v_add_f16_e32 v7, v7, v23
	v_add_f16_e32 v7, v7, v21
	;; [unrolled: 1-line block ×8, first 2 shown]
	v_mul_lo_u16_e32 v9, 60, v9
	v_sub_f16_e32 v22, v7, v21
	v_sub_f16_e32 v12, v6, v11
	v_add_f16_e32 v14, v28, v32
	v_add_f16_e32 v7, v7, v21
	;; [unrolled: 1-line block ×4, first 2 shown]
	v_lshlrev_b32_e32 v10, 2, v10
	v_lshlrev_b32_e32 v9, 2, v9
	v_add_f16_e32 v13, v29, v33
	v_add_f16_e32 v15, v27, v31
	v_add3_u32 v9, 0, v10, v9
	v_pack_b32_f16 v6, v6, v7
	v_pack_b32_f16 v7, v21, v14
	ds_write2_b32 v9, v6, v7 offset1:10
	v_pack_b32_f16 v6, v15, v13
	v_pack_b32_f16 v7, v12, v22
	s_mov_b32 s6, 0x5040100
	ds_write2_b32 v9, v6, v7 offset0:20 offset1:30
	v_perm_b32 v6, v20, v18, s6
	v_perm_b32 v7, v19, v17, s6
	ds_write2_b32 v9, v6, v7 offset0:40 offset1:50
.LBB0_23:
	s_or_b64 exec, exec, s[2:3]
	s_movk_i32 s2, 0x89
	v_mul_lo_u16_sdwa v6, v5, s2 dst_sel:DWORD dst_unused:UNUSED_PAD src0_sel:BYTE_0 src1_sel:DWORD
	v_lshrrev_b16_e32 v15, 13, v6
	v_mul_lo_u16_e32 v6, 60, v15
	v_sub_u16_e32 v31, v5, v6
	v_mov_b32_e32 v6, 9
	v_mul_u32_u24_sdwa v6, v31, v6 dst_sel:DWORD dst_unused:UNUSED_PAD src0_sel:BYTE_0 src1_sel:DWORD
	v_lshlrev_b32_e32 v6, 2, v6
	s_waitcnt lgkmcnt(0)
	s_barrier
	global_load_dwordx4 v[9:12], v6, s[12:13] offset:200
	global_load_dwordx4 v[21:24], v6, s[12:13] offset:216
	global_load_dword v32, v6, s[12:13] offset:232
	ds_read2_b32 v[6:7], v0 offset1:180
	v_add_u32_e32 v13, 0x500, v0
	v_add_u32_e32 v27, 0xb00, v0
	;; [unrolled: 1-line block ×4, first 2 shown]
	ds_read2_b32 v[13:14], v13 offset0:40 offset1:220
	ds_read2_b32 v[25:26], v25 offset0:56 offset1:236
	;; [unrolled: 1-line block ×4, first 2 shown]
	s_waitcnt lgkmcnt(4)
	v_lshrrev_b32_e32 v34, 16, v7
	s_waitcnt lgkmcnt(3)
	v_lshrrev_b32_e32 v39, 16, v13
	;; [unrolled: 2-line block ×5, first 2 shown]
	v_lshrrev_b32_e32 v38, 16, v30
	v_lshrrev_b32_e32 v42, 16, v28
	;; [unrolled: 1-line block ×4, first 2 shown]
	s_movk_i32 s7, 0x3b9c
	s_mov_b32 s3, 0xbb9c
	s_movk_i32 s8, 0x38b4
	s_mov_b32 s2, 0xb8b4
	v_lshrrev_b32_e32 v33, 16, v6
	s_movk_i32 s6, 0x34f2
	v_lshlrev_b32_sdwa v8, v8, v31 dst_sel:DWORD dst_unused:UNUSED_PAD src0_sel:DWORD src1_sel:BYTE_0
	s_waitcnt vmcnt(0)
	s_barrier
	v_cmp_gt_u32_e32 vcc, 60, v5
	v_mul_f16_sdwa v47, v9, v7 dst_sel:DWORD dst_unused:UNUSED_PAD src0_sel:WORD_1 src1_sel:DWORD
	v_mul_f16_sdwa v48, v9, v34 dst_sel:DWORD dst_unused:UNUSED_PAD src0_sel:WORD_1 src1_sel:DWORD
	;; [unrolled: 1-line block ×3, first 2 shown]
	v_mul_f16_sdwa v53, v35, v22 dst_sel:DWORD dst_unused:UNUSED_PAD src0_sel:DWORD src1_sel:WORD_1
	v_mul_f16_sdwa v43, v10, v39 dst_sel:DWORD dst_unused:UNUSED_PAD src0_sel:WORD_1 src1_sel:DWORD
	v_mul_f16_sdwa v44, v10, v13 dst_sel:DWORD dst_unused:UNUSED_PAD src0_sel:WORD_1 src1_sel:DWORD
	;; [unrolled: 1-line block ×4, first 2 shown]
	v_mul_f16_sdwa v54, v25, v22 dst_sel:DWORD dst_unused:UNUSED_PAD src0_sel:DWORD src1_sel:WORD_1
	v_mul_f16_sdwa v57, v37, v24 dst_sel:DWORD dst_unused:UNUSED_PAD src0_sel:DWORD src1_sel:WORD_1
	;; [unrolled: 1-line block ×5, first 2 shown]
	v_fma_f16 v34, v9, v34, v47
	v_fma_f16 v7, v9, v7, -v48
	v_fma_f16 v9, v12, v27, -v50
	;; [unrolled: 1-line block ×3, first 2 shown]
	v_mul_f16_sdwa v45, v11, v40 dst_sel:DWORD dst_unused:UNUSED_PAD src0_sel:WORD_1 src1_sel:DWORD
	v_mul_f16_sdwa v46, v11, v14 dst_sel:DWORD dst_unused:UNUSED_PAD src0_sel:WORD_1 src1_sel:DWORD
	;; [unrolled: 1-line block ×3, first 2 shown]
	v_fma_f16 v13, v10, v13, -v43
	v_fma_f16 v10, v10, v39, v44
	v_fma_f16 v39, v12, v41, v49
	v_fma_f16 v12, v21, v28, -v51
	v_fma_f16 v27, v29, v24, -v57
	v_fma_f16 v24, v37, v24, v58
	v_fma_f16 v28, v30, v32, -v59
	v_fma_f16 v29, v38, v32, v60
	v_add_f16_e32 v32, v9, v25
	v_mul_f16_sdwa v55, v36, v23 dst_sel:DWORD dst_unused:UNUSED_PAD src0_sel:DWORD src1_sel:WORD_1
	v_mul_f16_sdwa v56, v26, v23 dst_sel:DWORD dst_unused:UNUSED_PAD src0_sel:DWORD src1_sel:WORD_1
	v_fma_f16 v14, v11, v14, -v45
	v_fma_f16 v11, v11, v40, v46
	v_fma_f16 v22, v35, v22, v54
	v_sub_f16_e32 v35, v10, v24
	v_sub_f16_e32 v37, v13, v9
	v_sub_f16_e32 v38, v27, v25
	v_add_f16_e32 v40, v13, v27
	v_fma_f16 v32, v32, -0.5, v6
	v_fma_f16 v26, v26, v23, -v55
	v_fma_f16 v23, v36, v23, v56
	v_add_f16_e32 v30, v6, v13
	v_sub_f16_e32 v36, v39, v22
	v_add_f16_e32 v37, v37, v38
	v_fma_f16 v6, v40, -0.5, v6
	v_fma_f16 v38, v35, s7, v32
	v_fma_f16 v32, v35, s3, v32
	v_add_f16_e32 v30, v30, v9
	v_fma_f16 v40, v36, s3, v6
	v_fma_f16 v38, v36, s8, v38
	;; [unrolled: 1-line block ×4, first 2 shown]
	v_add_f16_e32 v36, v39, v22
	v_add_f16_e32 v30, v30, v25
	v_fma_f16 v38, v37, s6, v38
	v_fma_f16 v32, v37, s6, v32
	;; [unrolled: 1-line block ×3, first 2 shown]
	v_sub_f16_e32 v40, v9, v13
	v_sub_f16_e32 v41, v25, v27
	v_fma_f16 v36, v36, -0.5, v33
	v_sub_f16_e32 v13, v13, v27
	v_add_f16_e32 v30, v30, v27
	v_add_f16_e32 v40, v40, v41
	v_fma_f16 v6, v35, s2, v6
	v_fma_f16 v27, v13, s3, v36
	v_sub_f16_e32 v9, v9, v25
	v_fma_f16 v37, v40, s6, v37
	v_fma_f16 v6, v40, s6, v6
	;; [unrolled: 1-line block ×3, first 2 shown]
	v_sub_f16_e32 v27, v10, v39
	v_sub_f16_e32 v40, v24, v22
	v_fma_f16 v36, v13, s7, v36
	v_add_f16_e32 v27, v27, v40
	v_fma_f16 v36, v9, s8, v36
	v_fma_f16 v25, v27, s6, v25
	;; [unrolled: 1-line block ×3, first 2 shown]
	v_add_f16_e32 v36, v10, v24
	v_add_f16_e32 v35, v33, v10
	v_fma_f16 v33, v36, -0.5, v33
	v_add_f16_e32 v35, v35, v39
	v_fma_f16 v36, v9, s7, v33
	v_fma_f16 v9, v9, s3, v33
	v_add_f16_e32 v35, v35, v22
	v_fma_f16 v36, v13, s2, v36
	v_sub_f16_e32 v10, v39, v10
	v_sub_f16_e32 v22, v22, v24
	v_fma_f16 v9, v13, s8, v9
	v_add_f16_e32 v13, v12, v26
	v_fma_f16 v21, v21, v42, v52
	v_add_f16_e32 v35, v35, v24
	v_add_f16_e32 v10, v10, v22
	v_fma_f16 v13, v13, -0.5, v7
	v_sub_f16_e32 v24, v11, v29
	v_fma_f16 v22, v10, s6, v36
	v_fma_f16 v33, v24, s7, v13
	v_sub_f16_e32 v36, v21, v23
	v_sub_f16_e32 v39, v14, v12
	;; [unrolled: 1-line block ×3, first 2 shown]
	v_fma_f16 v13, v24, s3, v13
	v_fma_f16 v33, v36, s8, v33
	v_add_f16_e32 v39, v39, v40
	v_fma_f16 v13, v36, s2, v13
	v_fma_f16 v33, v39, s6, v33
	;; [unrolled: 1-line block ×3, first 2 shown]
	v_add_f16_e32 v39, v14, v28
	v_fma_f16 v9, v10, s6, v9
	v_add_f16_e32 v10, v7, v14
	v_fma_f16 v7, v39, -0.5, v7
	v_add_f16_e32 v10, v10, v12
	v_fma_f16 v39, v36, s3, v7
	v_fma_f16 v7, v36, s7, v7
	v_add_f16_e32 v36, v21, v23
	v_add_f16_e32 v10, v10, v26
	v_sub_f16_e32 v40, v12, v14
	v_sub_f16_e32 v41, v26, v28
	v_fma_f16 v36, v36, -0.5, v34
	v_sub_f16_e32 v14, v14, v28
	v_add_f16_e32 v10, v10, v28
	v_fma_f16 v39, v24, s8, v39
	v_add_f16_e32 v40, v40, v41
	v_fma_f16 v7, v24, s2, v7
	v_fma_f16 v28, v14, s3, v36
	v_sub_f16_e32 v12, v12, v26
	v_fma_f16 v39, v40, s6, v39
	v_fma_f16 v7, v40, s6, v7
	;; [unrolled: 1-line block ×3, first 2 shown]
	v_sub_f16_e32 v28, v11, v21
	v_sub_f16_e32 v40, v29, v23
	v_fma_f16 v36, v14, s7, v36
	v_add_f16_e32 v28, v28, v40
	v_fma_f16 v36, v12, s8, v36
	v_fma_f16 v26, v28, s6, v26
	;; [unrolled: 1-line block ×3, first 2 shown]
	v_add_f16_e32 v36, v11, v29
	v_add_f16_e32 v24, v34, v11
	v_fma_f16 v34, v36, -0.5, v34
	v_add_f16_e32 v24, v24, v21
	v_fma_f16 v36, v12, s7, v34
	v_sub_f16_e32 v11, v21, v11
	v_sub_f16_e32 v21, v23, v29
	v_fma_f16 v12, v12, s3, v34
	v_fma_f16 v36, v14, s2, v36
	v_add_f16_e32 v11, v11, v21
	v_fma_f16 v12, v14, s8, v12
	v_add_f16_e32 v24, v24, v23
	v_fma_f16 v21, v11, s6, v36
	v_fma_f16 v11, v11, s6, v12
	v_mul_f16_e32 v14, 0x38b4, v26
	v_mul_f16_e32 v36, 0x34f2, v7
	v_add_f16_e32 v24, v24, v29
	v_fma_f16 v14, v33, s9, v14
	v_mul_f16_e32 v29, 0x3b9c, v21
	v_fma_f16 v36, v11, s7, -v36
	v_mul_f16_e32 v33, 0xb8b4, v33
	v_mul_f16_e32 v11, 0x34f2, v11
	v_fma_f16 v29, v39, s6, v29
	v_fma_f16 v26, v26, s9, v33
	v_mul_f16_e32 v39, 0xbb9c, v39
	v_fma_f16 v7, v7, s3, -v11
	v_add_f16_e32 v12, v30, v10
	v_add_f16_e32 v23, v38, v14
	v_mul_f16_e32 v41, 0x3a79, v13
	v_add_f16_e32 v43, v35, v24
	v_add_f16_e32 v33, v25, v26
	v_fma_f16 v39, v21, s6, v39
	v_add_f16_e32 v11, v9, v7
	v_mul_f16_e32 v21, 0x3a79, v28
	v_sub_f16_e32 v7, v9, v7
	v_mul_u32_u24_e32 v9, 0x960, v15
	v_add_f16_e32 v34, v37, v29
	v_add_f16_e32 v40, v6, v36
	v_fma_f16 v41, v28, s8, -v41
	v_add_f16_e32 v44, v22, v39
	v_fma_f16 v13, v13, s2, -v21
	v_add3_u32 v8, 0, v9, v8
	v_pack_b32_f16 v9, v12, v43
	v_pack_b32_f16 v12, v23, v33
	v_add_f16_e32 v42, v32, v41
	v_add_f16_e32 v28, v27, v13
	v_sub_f16_e32 v10, v30, v10
	v_sub_f16_e32 v24, v35, v24
	ds_write2_b32 v8, v9, v12 offset1:60
	v_pack_b32_f16 v9, v34, v44
	v_pack_b32_f16 v11, v40, v11
	v_sub_f16_e32 v14, v38, v14
	v_sub_f16_e32 v29, v37, v29
	;; [unrolled: 1-line block ×7, first 2 shown]
	ds_write2_b32 v8, v9, v11 offset0:120 offset1:180
	v_pack_b32_f16 v9, v42, v28
	v_pack_b32_f16 v10, v10, v24
	v_add_u32_e32 v11, 0x200, v8
	ds_write2_b32 v11, v9, v10 offset0:112 offset1:172
	v_pack_b32_f16 v9, v14, v25
	v_pack_b32_f16 v10, v29, v26
	v_add_u32_e32 v11, 0x400, v8
	v_pack_b32_f16 v6, v6, v7
	v_pack_b32_f16 v7, v21, v22
	v_add_u32_e32 v8, 0x600, v8
	v_add_u32_e32 v23, 0x580, v0
	;; [unrolled: 1-line block ×4, first 2 shown]
	ds_write2_b32 v11, v9, v10 offset0:104 offset1:164
	ds_write2_b32 v8, v6, v7 offset0:96 offset1:156
	s_waitcnt lgkmcnt(0)
	s_barrier
	ds_read2_b32 v[8:9], v0 offset1:180
	ds_read2_b32 v[6:7], v23 offset0:8 offset1:248
	ds_read2_b32 v[12:13], v25 offset0:48 offset1:228
	;; [unrolled: 1-line block ×3, first 2 shown]
	ds_read_b32 v26, v0 offset:6240
	s_and_saveexec_b64 s[2:3], vcc
	s_cbranch_execz .LBB0_25
; %bb.24:
	ds_read_b32 v21, v0 offset:2160
	ds_read_b32 v17, v0 offset:6960
	;; [unrolled: 1-line block ×3, first 2 shown]
	s_waitcnt lgkmcnt(2)
	v_lshrrev_b32_e32 v22, 16, v21
	s_waitcnt lgkmcnt(1)
	v_lshrrev_b32_e32 v19, 16, v17
	;; [unrolled: 2-line block ×3, first 2 shown]
.LBB0_25:
	s_or_b64 exec, exec, s[2:3]
	v_lshlrev_b32_e32 v10, 1, v5
	v_mov_b32_e32 v11, 0
	v_lshlrev_b64 v[27:28], 2, v[10:11]
	v_lshlrev_b32_e32 v29, 1, v16
	v_mov_b32_e32 v30, v11
	v_mov_b32_e32 v33, s13
	v_add_co_u32_e64 v27, s[2:3], s12, v27
	v_lshlrev_b64 v[29:30], 2, v[29:30]
	v_addc_co_u32_e64 v28, s[2:3], v33, v28, s[2:3]
	v_add_u32_e32 v10, 0x2d0, v10
	v_add_co_u32_e64 v29, s[2:3], s12, v29
	v_lshlrev_b64 v[31:32], 2, v[10:11]
	v_addc_co_u32_e64 v30, s[2:3], v33, v30, s[2:3]
	v_add_co_u32_e64 v31, s[2:3], s12, v31
	global_load_dwordx2 v[27:28], v[27:28], off offset:2360
	v_addc_co_u32_e64 v32, s[2:3], v33, v32, s[2:3]
	global_load_dwordx2 v[29:30], v[29:30], off offset:2360
	s_waitcnt lgkmcnt(2)
	v_lshrrev_b32_e32 v38, 16, v12
	global_load_dwordx2 v[31:32], v[31:32], off offset:2360
	v_lshrrev_b32_e32 v39, 16, v7
	s_waitcnt lgkmcnt(1)
	v_lshrrev_b32_e32 v35, 16, v15
	v_lshrrev_b32_e32 v36, 16, v13
	v_lshrrev_b32_e32 v37, 16, v14
	v_lshrrev_b32_e32 v10, 16, v8
	s_waitcnt lgkmcnt(0)
	v_lshrrev_b32_e32 v34, 16, v26
	v_lshrrev_b32_e32 v16, 16, v9
	s_movk_i32 s6, 0x3aee
	s_mov_b32 s7, 0xbaee
	v_lshrrev_b32_e32 v33, 16, v6
	s_waitcnt vmcnt(0)
	s_barrier
	v_mul_f16_sdwa v40, v27, v39 dst_sel:DWORD dst_unused:UNUSED_PAD src0_sel:WORD_1 src1_sel:DWORD
	v_mul_f16_sdwa v41, v27, v7 dst_sel:DWORD dst_unused:UNUSED_PAD src0_sel:WORD_1 src1_sel:DWORD
	v_mul_f16_sdwa v42, v28, v38 dst_sel:DWORD dst_unused:UNUSED_PAD src0_sel:WORD_1 src1_sel:DWORD
	v_mul_f16_sdwa v43, v28, v12 dst_sel:DWORD dst_unused:UNUSED_PAD src0_sel:WORD_1 src1_sel:DWORD
	v_fma_f16 v7, v27, v7, -v40
	v_fma_f16 v27, v27, v39, v41
	v_fma_f16 v12, v28, v12, -v42
	v_fma_f16 v28, v28, v38, v43
	v_mul_f16_sdwa v38, v29, v37 dst_sel:DWORD dst_unused:UNUSED_PAD src0_sel:WORD_1 src1_sel:DWORD
	v_mul_f16_sdwa v39, v29, v14 dst_sel:DWORD dst_unused:UNUSED_PAD src0_sel:WORD_1 src1_sel:DWORD
	;; [unrolled: 1-line block ×8, first 2 shown]
	v_fma_f16 v14, v29, v14, -v38
	v_fma_f16 v29, v29, v37, v39
	v_fma_f16 v13, v30, v13, -v40
	v_fma_f16 v30, v30, v36, v41
	;; [unrolled: 2-line block ×3, first 2 shown]
	v_add_f16_e32 v35, v7, v12
	v_add_f16_e32 v37, v10, v27
	v_fma_f16 v26, v32, v26, -v44
	v_fma_f16 v32, v32, v34, v45
	v_add_f16_e32 v34, v8, v7
	v_sub_f16_e32 v36, v27, v28
	v_add_f16_e32 v27, v27, v28
	v_fma_f16 v8, v35, -0.5, v8
	v_add_f16_e32 v28, v37, v28
	v_sub_f16_e32 v35, v29, v30
	v_add_f16_e32 v37, v16, v29
	v_add_f16_e32 v29, v29, v30
	v_sub_f16_e32 v7, v7, v12
	v_add_f16_e32 v12, v34, v12
	v_fma_f16 v10, v27, -0.5, v10
	v_add_f16_e32 v27, v9, v14
	v_add_f16_e32 v34, v14, v13
	v_sub_f16_e32 v14, v14, v13
	v_add_f16_e32 v39, v15, v26
	v_fma_f16 v16, v29, -0.5, v16
	v_add_f16_e32 v38, v6, v15
	v_fma_f16 v40, v36, s6, v8
	v_fma_f16 v8, v36, s7, v8
	;; [unrolled: 1-line block ×4, first 2 shown]
	v_add_f16_e32 v10, v27, v13
	v_fma_f16 v9, v34, -0.5, v9
	v_add_f16_e32 v13, v37, v30
	v_fma_f16 v30, v14, s7, v16
	v_fma_f16 v14, v14, s6, v16
	v_fma_f16 v6, v39, -0.5, v6
	v_sub_f16_e32 v16, v31, v32
	v_fma_f16 v29, v35, s6, v9
	v_fma_f16 v9, v35, s7, v9
	;; [unrolled: 1-line block ×4, first 2 shown]
	v_add_f16_e32 v16, v33, v31
	v_add_f16_e32 v31, v31, v32
	;; [unrolled: 1-line block ×4, first 2 shown]
	v_fma_f16 v31, v31, -0.5, v33
	v_sub_f16_e32 v15, v15, v26
	v_pack_b32_f16 v7, v8, v7
	v_pack_b32_f16 v9, v9, v14
	v_fma_f16 v26, v15, s7, v31
	v_fma_f16 v15, v15, s6, v31
	v_pack_b32_f16 v12, v12, v28
	v_pack_b32_f16 v28, v40, v36
	;; [unrolled: 1-line block ×3, first 2 shown]
	ds_write2_b32 v25, v7, v9 offset0:48 offset1:228
	v_pack_b32_f16 v7, v27, v16
	ds_write2_b32 v0, v12, v8 offset1:180
	v_pack_b32_f16 v8, v29, v30
	ds_write2_b32 v23, v7, v28 offset0:8 offset1:248
	v_pack_b32_f16 v7, v34, v26
	v_pack_b32_f16 v6, v6, v15
	ds_write2_b32 v24, v8, v7 offset0:12 offset1:192
	ds_write_b32 v0, v6 offset:6240
	s_and_saveexec_b64 s[2:3], vcc
	s_cbranch_execz .LBB0_27
; %bb.26:
	v_not_b32_e32 v6, 59
	v_mov_b32_e32 v7, 0x21c
	v_cndmask_b32_e32 v6, v6, v7, vcc
	v_add_lshl_u32 v10, v5, v6, 1
	v_lshlrev_b64 v[6:7], 2, v[10:11]
	v_mov_b32_e32 v8, s13
	v_add_co_u32_e32 v6, vcc, s12, v6
	v_addc_co_u32_e32 v7, vcc, v8, v7, vcc
	global_load_dwordx2 v[6:7], v[6:7], off offset:2360
	s_waitcnt vmcnt(0)
	v_mul_f16_sdwa v8, v20, v6 dst_sel:DWORD dst_unused:UNUSED_PAD src0_sel:DWORD src1_sel:WORD_1
	v_mul_f16_sdwa v9, v19, v7 dst_sel:DWORD dst_unused:UNUSED_PAD src0_sel:DWORD src1_sel:WORD_1
	;; [unrolled: 1-line block ×4, first 2 shown]
	v_fma_f16 v8, v18, v6, -v8
	v_fma_f16 v9, v17, v7, -v9
	v_fma_f16 v6, v20, v6, v10
	v_fma_f16 v7, v19, v7, v11
	v_add_f16_e32 v11, v6, v7
	v_add_f16_e32 v12, v22, v6
	;; [unrolled: 1-line block ×3, first 2 shown]
	v_sub_f16_e32 v10, v8, v9
	v_sub_f16_e32 v6, v6, v7
	v_add_f16_e32 v8, v21, v8
	v_fma_f16 v11, v11, -0.5, v22
	v_add_f16_e32 v7, v12, v7
	v_fma_f16 v12, v13, -0.5, v21
	v_add_f16_e32 v8, v8, v9
	v_fma_f16 v9, v10, s6, v11
	v_fma_f16 v10, v10, s7, v11
	;; [unrolled: 1-line block ×4, first 2 shown]
	v_pack_b32_f16 v7, v8, v7
	v_pack_b32_f16 v6, v6, v10
	ds_write_b32 v0, v7 offset:2160
	v_pack_b32_f16 v7, v11, v9
	ds_write_b32 v0, v6 offset:4560
	ds_write_b32 v0, v7 offset:6960
.LBB0_27:
	s_or_b64 exec, exec, s[2:3]
	s_waitcnt lgkmcnt(0)
	s_barrier
	s_and_saveexec_b64 s[2:3], s[0:1]
	s_cbranch_execz .LBB0_29
; %bb.28:
	v_mul_lo_u32 v0, s5, v3
	v_mul_lo_u32 v6, s4, v4
	v_mad_u64_u32 v[3:4], s[0:1], s4, v3, 0
	v_lshl_add_u32 v9, v5, 2, 0
	ds_read2_b32 v[7:8], v9 offset1:180
	v_add3_u32 v4, v4, v6, v0
	v_lshlrev_b64 v[3:4], 2, v[3:4]
	v_mov_b32_e32 v0, s11
	v_add_co_u32_e32 v3, vcc, s10, v3
	v_addc_co_u32_e32 v4, vcc, v0, v4, vcc
	v_lshlrev_b64 v[0:1], 2, v[1:2]
	v_mov_b32_e32 v6, 0
	v_add_co_u32_e32 v10, vcc, v3, v0
	v_addc_co_u32_e32 v4, vcc, v4, v1, vcc
	v_lshlrev_b64 v[0:1], 2, v[5:6]
	v_add_u32_e32 v2, 0x500, v9
	v_add_co_u32_e32 v0, vcc, v10, v0
	v_addc_co_u32_e32 v1, vcc, v4, v1, vcc
	s_waitcnt lgkmcnt(0)
	global_store_dword v[0:1], v7, off
	v_add_u32_e32 v0, 0xb4, v5
	v_mov_b32_e32 v1, v6
	v_lshlrev_b64 v[0:1], 2, v[0:1]
	ds_read2_b32 v[2:3], v2 offset0:40 offset1:220
	v_add_co_u32_e32 v0, vcc, v10, v0
	v_addc_co_u32_e32 v1, vcc, v4, v1, vcc
	global_store_dword v[0:1], v8, off
	v_add_u32_e32 v0, 0x168, v5
	v_mov_b32_e32 v1, v6
	v_lshlrev_b64 v[0:1], 2, v[0:1]
	v_add_co_u32_e32 v0, vcc, v10, v0
	v_addc_co_u32_e32 v1, vcc, v4, v1, vcc
	s_waitcnt lgkmcnt(0)
	global_store_dword v[0:1], v2, off
	v_add_u32_e32 v0, 0x21c, v5
	v_mov_b32_e32 v1, v6
	v_lshlrev_b64 v[0:1], 2, v[0:1]
	v_add_u32_e32 v2, 0xb00, v9
	v_add_co_u32_e32 v0, vcc, v10, v0
	v_addc_co_u32_e32 v1, vcc, v4, v1, vcc
	global_store_dword v[0:1], v3, off
	v_add_u32_e32 v0, 0x2d0, v5
	v_mov_b32_e32 v1, v6
	ds_read2_b32 v[2:3], v2 offset0:16 offset1:196
	v_lshlrev_b64 v[0:1], 2, v[0:1]
	v_add_co_u32_e32 v0, vcc, v10, v0
	v_addc_co_u32_e32 v1, vcc, v4, v1, vcc
	s_waitcnt lgkmcnt(0)
	global_store_dword v[0:1], v2, off
	v_add_u32_e32 v0, 0x384, v5
	v_mov_b32_e32 v1, v6
	v_lshlrev_b64 v[0:1], 2, v[0:1]
	v_add_u32_e32 v2, 0x1000, v9
	v_add_co_u32_e32 v0, vcc, v10, v0
	v_addc_co_u32_e32 v1, vcc, v4, v1, vcc
	global_store_dword v[0:1], v3, off
	v_add_u32_e32 v0, 0x438, v5
	v_mov_b32_e32 v1, v6
	ds_read2_b32 v[2:3], v2 offset0:56 offset1:236
	;; [unrolled: 15-line block ×3, first 2 shown]
	v_lshlrev_b64 v[0:1], 2, v[0:1]
	v_add_u32_e32 v5, 0x654, v5
	v_add_co_u32_e32 v0, vcc, v10, v0
	v_addc_co_u32_e32 v1, vcc, v4, v1, vcc
	s_waitcnt lgkmcnt(0)
	global_store_dword v[0:1], v2, off
	v_lshlrev_b64 v[0:1], 2, v[5:6]
	v_add_co_u32_e32 v0, vcc, v10, v0
	v_addc_co_u32_e32 v1, vcc, v4, v1, vcc
	global_store_dword v[0:1], v3, off
.LBB0_29:
	s_endpgm
	.section	.rodata,"a",@progbits
	.p2align	6, 0x0
	.amdhsa_kernel fft_rtc_fwd_len1800_factors_10_6_10_3_wgs_180_tpt_180_halfLds_half_op_CI_CI_unitstride_sbrr_C2R_dirReg
		.amdhsa_group_segment_fixed_size 0
		.amdhsa_private_segment_fixed_size 0
		.amdhsa_kernarg_size 104
		.amdhsa_user_sgpr_count 6
		.amdhsa_user_sgpr_private_segment_buffer 1
		.amdhsa_user_sgpr_dispatch_ptr 0
		.amdhsa_user_sgpr_queue_ptr 0
		.amdhsa_user_sgpr_kernarg_segment_ptr 1
		.amdhsa_user_sgpr_dispatch_id 0
		.amdhsa_user_sgpr_flat_scratch_init 0
		.amdhsa_user_sgpr_private_segment_size 0
		.amdhsa_uses_dynamic_stack 0
		.amdhsa_system_sgpr_private_segment_wavefront_offset 0
		.amdhsa_system_sgpr_workgroup_id_x 1
		.amdhsa_system_sgpr_workgroup_id_y 0
		.amdhsa_system_sgpr_workgroup_id_z 0
		.amdhsa_system_sgpr_workgroup_info 0
		.amdhsa_system_vgpr_workitem_id 0
		.amdhsa_next_free_vgpr 61
		.amdhsa_next_free_sgpr 28
		.amdhsa_reserve_vcc 1
		.amdhsa_reserve_flat_scratch 0
		.amdhsa_float_round_mode_32 0
		.amdhsa_float_round_mode_16_64 0
		.amdhsa_float_denorm_mode_32 3
		.amdhsa_float_denorm_mode_16_64 3
		.amdhsa_dx10_clamp 1
		.amdhsa_ieee_mode 1
		.amdhsa_fp16_overflow 0
		.amdhsa_exception_fp_ieee_invalid_op 0
		.amdhsa_exception_fp_denorm_src 0
		.amdhsa_exception_fp_ieee_div_zero 0
		.amdhsa_exception_fp_ieee_overflow 0
		.amdhsa_exception_fp_ieee_underflow 0
		.amdhsa_exception_fp_ieee_inexact 0
		.amdhsa_exception_int_div_zero 0
	.end_amdhsa_kernel
	.text
.Lfunc_end0:
	.size	fft_rtc_fwd_len1800_factors_10_6_10_3_wgs_180_tpt_180_halfLds_half_op_CI_CI_unitstride_sbrr_C2R_dirReg, .Lfunc_end0-fft_rtc_fwd_len1800_factors_10_6_10_3_wgs_180_tpt_180_halfLds_half_op_CI_CI_unitstride_sbrr_C2R_dirReg
                                        ; -- End function
	.section	.AMDGPU.csdata,"",@progbits
; Kernel info:
; codeLenInByte = 8364
; NumSgprs: 32
; NumVgprs: 61
; ScratchSize: 0
; MemoryBound: 0
; FloatMode: 240
; IeeeMode: 1
; LDSByteSize: 0 bytes/workgroup (compile time only)
; SGPRBlocks: 3
; VGPRBlocks: 15
; NumSGPRsForWavesPerEU: 32
; NumVGPRsForWavesPerEU: 61
; Occupancy: 4
; WaveLimiterHint : 1
; COMPUTE_PGM_RSRC2:SCRATCH_EN: 0
; COMPUTE_PGM_RSRC2:USER_SGPR: 6
; COMPUTE_PGM_RSRC2:TRAP_HANDLER: 0
; COMPUTE_PGM_RSRC2:TGID_X_EN: 1
; COMPUTE_PGM_RSRC2:TGID_Y_EN: 0
; COMPUTE_PGM_RSRC2:TGID_Z_EN: 0
; COMPUTE_PGM_RSRC2:TIDIG_COMP_CNT: 0
	.type	__hip_cuid_70772d1e4ba38c7f,@object ; @__hip_cuid_70772d1e4ba38c7f
	.section	.bss,"aw",@nobits
	.globl	__hip_cuid_70772d1e4ba38c7f
__hip_cuid_70772d1e4ba38c7f:
	.byte	0                               ; 0x0
	.size	__hip_cuid_70772d1e4ba38c7f, 1

	.ident	"AMD clang version 19.0.0git (https://github.com/RadeonOpenCompute/llvm-project roc-6.4.0 25133 c7fe45cf4b819c5991fe208aaa96edf142730f1d)"
	.section	".note.GNU-stack","",@progbits
	.addrsig
	.addrsig_sym __hip_cuid_70772d1e4ba38c7f
	.amdgpu_metadata
---
amdhsa.kernels:
  - .args:
      - .actual_access:  read_only
        .address_space:  global
        .offset:         0
        .size:           8
        .value_kind:     global_buffer
      - .offset:         8
        .size:           8
        .value_kind:     by_value
      - .actual_access:  read_only
        .address_space:  global
        .offset:         16
        .size:           8
        .value_kind:     global_buffer
      - .actual_access:  read_only
        .address_space:  global
        .offset:         24
        .size:           8
        .value_kind:     global_buffer
      - .actual_access:  read_only
        .address_space:  global
        .offset:         32
        .size:           8
        .value_kind:     global_buffer
      - .offset:         40
        .size:           8
        .value_kind:     by_value
      - .actual_access:  read_only
        .address_space:  global
        .offset:         48
        .size:           8
        .value_kind:     global_buffer
      - .actual_access:  read_only
        .address_space:  global
        .offset:         56
        .size:           8
        .value_kind:     global_buffer
      - .offset:         64
        .size:           4
        .value_kind:     by_value
      - .actual_access:  read_only
        .address_space:  global
        .offset:         72
        .size:           8
        .value_kind:     global_buffer
      - .actual_access:  read_only
        .address_space:  global
        .offset:         80
        .size:           8
        .value_kind:     global_buffer
      - .actual_access:  read_only
        .address_space:  global
        .offset:         88
        .size:           8
        .value_kind:     global_buffer
      - .actual_access:  write_only
        .address_space:  global
        .offset:         96
        .size:           8
        .value_kind:     global_buffer
    .group_segment_fixed_size: 0
    .kernarg_segment_align: 8
    .kernarg_segment_size: 104
    .language:       OpenCL C
    .language_version:
      - 2
      - 0
    .max_flat_workgroup_size: 180
    .name:           fft_rtc_fwd_len1800_factors_10_6_10_3_wgs_180_tpt_180_halfLds_half_op_CI_CI_unitstride_sbrr_C2R_dirReg
    .private_segment_fixed_size: 0
    .sgpr_count:     32
    .sgpr_spill_count: 0
    .symbol:         fft_rtc_fwd_len1800_factors_10_6_10_3_wgs_180_tpt_180_halfLds_half_op_CI_CI_unitstride_sbrr_C2R_dirReg.kd
    .uniform_work_group_size: 1
    .uses_dynamic_stack: false
    .vgpr_count:     61
    .vgpr_spill_count: 0
    .wavefront_size: 64
amdhsa.target:   amdgcn-amd-amdhsa--gfx906
amdhsa.version:
  - 1
  - 2
...

	.end_amdgpu_metadata
